;; amdgpu-corpus repo=ROCm/rocFFT kind=compiled arch=gfx1030 opt=O3
	.text
	.amdgcn_target "amdgcn-amd-amdhsa--gfx1030"
	.amdhsa_code_object_version 6
	.protected	fft_rtc_fwd_len660_factors_11_6_10_wgs_110_tpt_110_halfLds_dp_ip_CI_unitstride_sbrr_R2C_dirReg ; -- Begin function fft_rtc_fwd_len660_factors_11_6_10_wgs_110_tpt_110_halfLds_dp_ip_CI_unitstride_sbrr_R2C_dirReg
	.globl	fft_rtc_fwd_len660_factors_11_6_10_wgs_110_tpt_110_halfLds_dp_ip_CI_unitstride_sbrr_R2C_dirReg
	.p2align	8
	.type	fft_rtc_fwd_len660_factors_11_6_10_wgs_110_tpt_110_halfLds_dp_ip_CI_unitstride_sbrr_R2C_dirReg,@function
fft_rtc_fwd_len660_factors_11_6_10_wgs_110_tpt_110_halfLds_dp_ip_CI_unitstride_sbrr_R2C_dirReg: ; @fft_rtc_fwd_len660_factors_11_6_10_wgs_110_tpt_110_halfLds_dp_ip_CI_unitstride_sbrr_R2C_dirReg
; %bb.0:
	s_clause 0x2
	s_load_dwordx4 s[8:11], s[4:5], 0x0
	s_load_dwordx2 s[2:3], s[4:5], 0x50
	s_load_dwordx2 s[12:13], s[4:5], 0x18
	v_mul_u32_u24_e32 v1, 0x254, v0
	v_mov_b32_e32 v3, 0
	v_add_nc_u32_sdwa v5, s6, v1 dst_sel:DWORD dst_unused:UNUSED_PAD src0_sel:DWORD src1_sel:WORD_1
	v_mov_b32_e32 v1, 0
	v_mov_b32_e32 v6, v3
	v_mov_b32_e32 v2, 0
	s_waitcnt lgkmcnt(0)
	v_cmp_lt_u64_e64 s0, s[10:11], 2
	s_and_b32 vcc_lo, exec_lo, s0
	s_cbranch_vccnz .LBB0_8
; %bb.1:
	s_load_dwordx2 s[0:1], s[4:5], 0x10
	v_mov_b32_e32 v1, 0
	s_add_u32 s6, s12, 8
	v_mov_b32_e32 v2, 0
	s_addc_u32 s7, s13, 0
	s_mov_b64 s[16:17], 1
	s_waitcnt lgkmcnt(0)
	s_add_u32 s14, s0, 8
	s_addc_u32 s15, s1, 0
.LBB0_2:                                ; =>This Inner Loop Header: Depth=1
	s_load_dwordx2 s[18:19], s[14:15], 0x0
                                        ; implicit-def: $vgpr7_vgpr8
	s_mov_b32 s0, exec_lo
	s_waitcnt lgkmcnt(0)
	v_or_b32_e32 v4, s19, v6
	v_cmpx_ne_u64_e32 0, v[3:4]
	s_xor_b32 s1, exec_lo, s0
	s_cbranch_execz .LBB0_4
; %bb.3:                                ;   in Loop: Header=BB0_2 Depth=1
	v_cvt_f32_u32_e32 v4, s18
	v_cvt_f32_u32_e32 v7, s19
	s_sub_u32 s0, 0, s18
	s_subb_u32 s20, 0, s19
	v_fmac_f32_e32 v4, 0x4f800000, v7
	v_rcp_f32_e32 v4, v4
	v_mul_f32_e32 v4, 0x5f7ffffc, v4
	v_mul_f32_e32 v7, 0x2f800000, v4
	v_trunc_f32_e32 v7, v7
	v_fmac_f32_e32 v4, 0xcf800000, v7
	v_cvt_u32_f32_e32 v7, v7
	v_cvt_u32_f32_e32 v4, v4
	v_mul_lo_u32 v8, s0, v7
	v_mul_hi_u32 v9, s0, v4
	v_mul_lo_u32 v10, s20, v4
	v_add_nc_u32_e32 v8, v9, v8
	v_mul_lo_u32 v9, s0, v4
	v_add_nc_u32_e32 v8, v8, v10
	v_mul_hi_u32 v10, v4, v9
	v_mul_lo_u32 v11, v4, v8
	v_mul_hi_u32 v12, v4, v8
	v_mul_hi_u32 v13, v7, v9
	v_mul_lo_u32 v9, v7, v9
	v_mul_hi_u32 v14, v7, v8
	v_mul_lo_u32 v8, v7, v8
	v_add_co_u32 v10, vcc_lo, v10, v11
	v_add_co_ci_u32_e32 v11, vcc_lo, 0, v12, vcc_lo
	v_add_co_u32 v9, vcc_lo, v10, v9
	v_add_co_ci_u32_e32 v9, vcc_lo, v11, v13, vcc_lo
	v_add_co_ci_u32_e32 v10, vcc_lo, 0, v14, vcc_lo
	v_add_co_u32 v8, vcc_lo, v9, v8
	v_add_co_ci_u32_e32 v9, vcc_lo, 0, v10, vcc_lo
	v_add_co_u32 v4, vcc_lo, v4, v8
	v_add_co_ci_u32_e32 v7, vcc_lo, v7, v9, vcc_lo
	v_mul_hi_u32 v8, s0, v4
	v_mul_lo_u32 v10, s20, v4
	v_mul_lo_u32 v9, s0, v7
	v_add_nc_u32_e32 v8, v8, v9
	v_mul_lo_u32 v9, s0, v4
	v_add_nc_u32_e32 v8, v8, v10
	v_mul_hi_u32 v10, v4, v9
	v_mul_lo_u32 v11, v4, v8
	v_mul_hi_u32 v12, v4, v8
	v_mul_hi_u32 v13, v7, v9
	v_mul_lo_u32 v9, v7, v9
	v_mul_hi_u32 v14, v7, v8
	v_mul_lo_u32 v8, v7, v8
	v_add_co_u32 v10, vcc_lo, v10, v11
	v_add_co_ci_u32_e32 v11, vcc_lo, 0, v12, vcc_lo
	v_add_co_u32 v9, vcc_lo, v10, v9
	v_add_co_ci_u32_e32 v9, vcc_lo, v11, v13, vcc_lo
	v_add_co_ci_u32_e32 v10, vcc_lo, 0, v14, vcc_lo
	v_add_co_u32 v8, vcc_lo, v9, v8
	v_add_co_ci_u32_e32 v9, vcc_lo, 0, v10, vcc_lo
	v_add_co_u32 v4, vcc_lo, v4, v8
	v_add_co_ci_u32_e32 v11, vcc_lo, v7, v9, vcc_lo
	v_mul_hi_u32 v13, v5, v4
	v_mad_u64_u32 v[9:10], null, v6, v4, 0
	v_mad_u64_u32 v[7:8], null, v5, v11, 0
	;; [unrolled: 1-line block ×3, first 2 shown]
	v_add_co_u32 v4, vcc_lo, v13, v7
	v_add_co_ci_u32_e32 v7, vcc_lo, 0, v8, vcc_lo
	v_add_co_u32 v4, vcc_lo, v4, v9
	v_add_co_ci_u32_e32 v4, vcc_lo, v7, v10, vcc_lo
	v_add_co_ci_u32_e32 v7, vcc_lo, 0, v12, vcc_lo
	v_add_co_u32 v4, vcc_lo, v4, v11
	v_add_co_ci_u32_e32 v9, vcc_lo, 0, v7, vcc_lo
	v_mul_lo_u32 v10, s19, v4
	v_mad_u64_u32 v[7:8], null, s18, v4, 0
	v_mul_lo_u32 v11, s18, v9
	v_sub_co_u32 v7, vcc_lo, v5, v7
	v_add3_u32 v8, v8, v11, v10
	v_sub_nc_u32_e32 v10, v6, v8
	v_subrev_co_ci_u32_e64 v10, s0, s19, v10, vcc_lo
	v_add_co_u32 v11, s0, v4, 2
	v_add_co_ci_u32_e64 v12, s0, 0, v9, s0
	v_sub_co_u32 v13, s0, v7, s18
	v_sub_co_ci_u32_e32 v8, vcc_lo, v6, v8, vcc_lo
	v_subrev_co_ci_u32_e64 v10, s0, 0, v10, s0
	v_cmp_le_u32_e32 vcc_lo, s18, v13
	v_cmp_eq_u32_e64 s0, s19, v8
	v_cndmask_b32_e64 v13, 0, -1, vcc_lo
	v_cmp_le_u32_e32 vcc_lo, s19, v10
	v_cndmask_b32_e64 v14, 0, -1, vcc_lo
	v_cmp_le_u32_e32 vcc_lo, s18, v7
	;; [unrolled: 2-line block ×3, first 2 shown]
	v_cndmask_b32_e64 v15, 0, -1, vcc_lo
	v_cmp_eq_u32_e32 vcc_lo, s19, v10
	v_cndmask_b32_e64 v7, v15, v7, s0
	v_cndmask_b32_e32 v10, v14, v13, vcc_lo
	v_add_co_u32 v13, vcc_lo, v4, 1
	v_add_co_ci_u32_e32 v14, vcc_lo, 0, v9, vcc_lo
	v_cmp_ne_u32_e32 vcc_lo, 0, v10
	v_cndmask_b32_e32 v8, v14, v12, vcc_lo
	v_cndmask_b32_e32 v10, v13, v11, vcc_lo
	v_cmp_ne_u32_e32 vcc_lo, 0, v7
	v_cndmask_b32_e32 v8, v9, v8, vcc_lo
	v_cndmask_b32_e32 v7, v4, v10, vcc_lo
.LBB0_4:                                ;   in Loop: Header=BB0_2 Depth=1
	s_andn2_saveexec_b32 s0, s1
	s_cbranch_execz .LBB0_6
; %bb.5:                                ;   in Loop: Header=BB0_2 Depth=1
	v_cvt_f32_u32_e32 v4, s18
	s_sub_i32 s1, 0, s18
	v_rcp_iflag_f32_e32 v4, v4
	v_mul_f32_e32 v4, 0x4f7ffffe, v4
	v_cvt_u32_f32_e32 v4, v4
	v_mul_lo_u32 v7, s1, v4
	v_mul_hi_u32 v7, v4, v7
	v_add_nc_u32_e32 v4, v4, v7
	v_mul_hi_u32 v4, v5, v4
	v_mul_lo_u32 v7, v4, s18
	v_add_nc_u32_e32 v8, 1, v4
	v_sub_nc_u32_e32 v7, v5, v7
	v_subrev_nc_u32_e32 v9, s18, v7
	v_cmp_le_u32_e32 vcc_lo, s18, v7
	v_cndmask_b32_e32 v7, v7, v9, vcc_lo
	v_cndmask_b32_e32 v4, v4, v8, vcc_lo
	v_cmp_le_u32_e32 vcc_lo, s18, v7
	v_add_nc_u32_e32 v8, 1, v4
	v_cndmask_b32_e32 v7, v4, v8, vcc_lo
	v_mov_b32_e32 v8, v3
.LBB0_6:                                ;   in Loop: Header=BB0_2 Depth=1
	s_or_b32 exec_lo, exec_lo, s0
	s_load_dwordx2 s[0:1], s[6:7], 0x0
	v_mul_lo_u32 v4, v8, s18
	v_mul_lo_u32 v11, v7, s19
	v_mad_u64_u32 v[9:10], null, v7, s18, 0
	s_add_u32 s16, s16, 1
	s_addc_u32 s17, s17, 0
	s_add_u32 s6, s6, 8
	s_addc_u32 s7, s7, 0
	;; [unrolled: 2-line block ×3, first 2 shown]
	v_add3_u32 v4, v10, v11, v4
	v_sub_co_u32 v5, vcc_lo, v5, v9
	v_sub_co_ci_u32_e32 v4, vcc_lo, v6, v4, vcc_lo
	s_waitcnt lgkmcnt(0)
	v_mul_lo_u32 v6, s1, v5
	v_mul_lo_u32 v4, s0, v4
	v_mad_u64_u32 v[1:2], null, s0, v5, v[1:2]
	v_cmp_ge_u64_e64 s0, s[16:17], s[10:11]
	s_and_b32 vcc_lo, exec_lo, s0
	v_add3_u32 v2, v6, v2, v4
	s_cbranch_vccnz .LBB0_9
; %bb.7:                                ;   in Loop: Header=BB0_2 Depth=1
	v_mov_b32_e32 v5, v7
	v_mov_b32_e32 v6, v8
	s_branch .LBB0_2
.LBB0_8:
	v_mov_b32_e32 v8, v6
	v_mov_b32_e32 v7, v5
.LBB0_9:
	s_lshl_b64 s[0:1], s[10:11], 3
	v_mul_hi_u32 v3, 0x253c826, v0
	s_add_u32 s0, s12, s0
	s_addc_u32 s1, s13, s1
	s_load_dwordx2 s[0:1], s[0:1], 0x0
	s_load_dwordx2 s[4:5], s[4:5], 0x20
	v_mul_u32_u24_e32 v3, 0x6e, v3
	v_sub_nc_u32_e32 v60, v0, v3
	v_lshl_add_u32 v184, v60, 4, 0
	s_waitcnt lgkmcnt(0)
	v_mul_lo_u32 v4, s0, v8
	v_mul_lo_u32 v5, s1, v7
	v_mad_u64_u32 v[1:2], null, s0, v7, v[1:2]
	v_cmp_gt_u64_e32 vcc_lo, s[4:5], v[7:8]
	v_add3_u32 v2, v5, v2, v4
	v_lshlrev_b64 v[62:63], 4, v[1:2]
	s_and_saveexec_b32 s1, vcc_lo
	s_cbranch_execz .LBB0_11
; %bb.10:
	v_mov_b32_e32 v61, 0
	v_add_co_u32 v2, s0, s2, v62
	v_add_co_ci_u32_e64 v3, s0, s3, v63, s0
	v_lshlrev_b64 v[0:1], 4, v[60:61]
	v_add_co_u32 v4, s0, v2, v0
	v_add_co_ci_u32_e64 v5, s0, v3, v1, s0
	v_add_co_u32 v8, s0, 0x800, v4
	v_add_co_ci_u32_e64 v9, s0, 0, v5, s0
	;; [unrolled: 2-line block ×5, first 2 shown]
	s_clause 0x5
	global_load_dwordx4 v[0:3], v[4:5], off
	global_load_dwordx4 v[4:7], v[4:5], off offset:1760
	global_load_dwordx4 v[8:11], v[8:9], off offset:1472
	;; [unrolled: 1-line block ×5, first 2 shown]
	s_waitcnt vmcnt(5)
	ds_write_b128 v184, v[0:3]
	s_waitcnt vmcnt(4)
	ds_write_b128 v184, v[4:7] offset:1760
	s_waitcnt vmcnt(3)
	ds_write_b128 v184, v[8:11] offset:3520
	;; [unrolled: 2-line block ×5, first 2 shown]
.LBB0_11:
	s_or_b32 exec_lo, exec_lo, s1
	s_waitcnt lgkmcnt(0)
	s_barrier
	buffer_gl0_inv
	ds_read_b128 v[16:19], v184 offset:9600
	ds_read_b128 v[28:31], v184 offset:960
	;; [unrolled: 1-line block ×3, first 2 shown]
	ds_read_b128 v[32:35], v184
	ds_read_b128 v[40:43], v184 offset:1920
	s_mov_b32 s10, 0x8eee2c13
	s_mov_b32 s11, 0xbfed1bb4
	ds_read_b128 v[44:47], v184 offset:2880
	ds_read_b128 v[24:27], v184 offset:7680
	s_mov_b32 s12, 0xd9c712b6
	s_mov_b32 s6, 0xbb3a28a1
	;; [unrolled: 1-line block ×6, first 2 shown]
	ds_read_b128 v[36:39], v184 offset:6720
	ds_read_b128 v[52:55], v184 offset:3840
	s_mov_b32 s4, 0x7f775887
	s_mov_b32 s16, 0xfd768dbf
	s_mov_b32 s22, 0x640f44db
	s_mov_b32 s5, 0xbfe4f49e
	s_mov_b32 s17, 0xbfd207e7
	s_waitcnt lgkmcnt(7)
	v_add_f64 v[74:75], v[30:31], -v[18:19]
	v_add_f64 v[64:65], v[28:29], -v[16:17]
	v_add_f64 v[66:67], v[28:29], v[16:17]
	s_waitcnt lgkmcnt(4)
	v_add_f64 v[76:77], v[42:43], -v[22:23]
	v_add_f64 v[78:79], v[30:31], v[18:19]
	v_add_f64 v[68:69], v[40:41], -v[20:21]
	s_waitcnt lgkmcnt(2)
	v_add_f64 v[84:85], v[46:47], -v[26:27]
	v_add_f64 v[80:81], v[44:45], -v[24:25]
	v_add_f64 v[86:87], v[40:41], v[20:21]
	v_add_f64 v[102:103], v[42:43], v[22:23]
	s_mov_b32 s19, 0x3fd207e7
	s_mov_b32 s23, 0xbfc2375f
	;; [unrolled: 1-line block ×3, first 2 shown]
	v_add_f64 v[88:89], v[44:45], v[24:25]
	v_add_f64 v[106:107], v[46:47], v[26:27]
	s_waitcnt lgkmcnt(0)
	v_add_f64 v[94:95], v[54:55], -v[38:39]
	v_add_f64 v[82:83], v[52:53], -v[36:37]
	ds_read_b128 v[56:59], v184 offset:4800
	ds_read_b128 v[48:51], v184 offset:5760
	s_mov_b32 s20, 0x9bcd5057
	s_mov_b32 s21, 0xbfeeb42a
	;; [unrolled: 1-line block ×4, first 2 shown]
	v_mul_f64 v[70:71], v[74:75], s[10:11]
	v_mul_f64 v[72:73], v[64:65], s[10:11]
	;; [unrolled: 1-line block ×11, first 2 shown]
	s_mov_b32 s24, s14
	s_mov_b32 s26, s10
	v_mul_f64 v[146:147], v[64:65], s[6:7]
	v_add_f64 v[114:115], v[52:53], v[36:37]
	v_add_f64 v[136:137], v[54:55], v[38:39]
	s_waitcnt lgkmcnt(0)
	v_add_f64 v[108:109], v[56:57], -v[48:49]
	v_mul_f64 v[118:119], v[94:95], s[24:25]
	v_mul_f64 v[120:121], v[82:83], s[24:25]
	;; [unrolled: 1-line block ×5, first 2 shown]
	v_fma_f64 v[0:1], v[66:67], s[12:13], v[70:71]
	v_fma_f64 v[2:3], v[78:79], s[12:13], -v[72:73]
	v_fma_f64 v[4:5], v[66:67], s[22:23], v[98:99]
	v_fma_f64 v[8:9], v[86:87], s[4:5], v[96:97]
	v_fma_f64 v[6:7], v[78:79], s[22:23], -v[104:105]
	v_fma_f64 v[10:11], v[102:103], s[4:5], -v[100:101]
	v_fma_f64 v[140:141], v[88:89], s[20:21], v[90:91]
	v_fma_f64 v[142:143], v[106:107], s[20:21], -v[92:93]
	v_fma_f64 v[12:13], v[86:87], s[20:21], v[110:111]
	v_fma_f64 v[14:15], v[102:103], s[20:21], -v[112:113]
	s_mov_b32 s28, 0xf8bb580b
	s_mov_b32 s29, 0x3fe14ced
	;; [unrolled: 1-line block ×4, first 2 shown]
	v_add_f64 v[128:129], v[58:59], -v[50:51]
	v_mul_f64 v[150:151], v[68:69], s[24:25]
	v_add_f64 v[144:145], v[58:59], v[50:51]
	v_mul_f64 v[124:125], v[108:109], s[28:29]
	v_mul_f64 v[132:133], v[94:95], s[30:31]
	;; [unrolled: 1-line block ×5, first 2 shown]
	v_add_f64 v[0:1], v[32:33], v[0:1]
	v_add_f64 v[2:3], v[34:35], v[2:3]
	;; [unrolled: 1-line block ×3, first 2 shown]
	v_fma_f64 v[166:167], v[88:89], s[12:13], v[126:127]
	v_add_f64 v[6:7], v[34:35], v[6:7]
	v_fma_f64 v[168:169], v[136:137], s[22:23], -v[120:121]
	v_mul_f64 v[162:163], v[64:65], s[16:17]
	v_fma_f64 v[170:171], v[86:87], s[22:23], v[148:149]
	s_mov_b32 s34, 0x8764f0ba
	s_mov_b32 s35, 0x3feaeb8c
	v_add_f64 v[116:117], v[56:57], v[48:49]
	v_mul_f64 v[156:157], v[80:81], s[30:31]
	v_mul_f64 v[158:159], v[94:95], s[16:17]
	;; [unrolled: 1-line block ×4, first 2 shown]
	v_fma_f64 v[172:173], v[102:103], s[22:23], -v[150:151]
	v_mul_f64 v[160:161], v[82:83], s[16:17]
	v_mul_f64 v[174:175], v[80:81], s[6:7]
	v_fma_f64 v[178:179], v[114:115], s[34:35], v[132:133]
	v_fma_f64 v[180:181], v[136:137], s[34:35], -v[134:135]
	v_fma_f64 v[185:186], v[88:89], s[34:35], v[152:153]
	v_fma_f64 v[182:183], v[66:67], s[20:21], v[154:155]
	v_add_f64 v[0:1], v[8:9], v[0:1]
	v_add_f64 v[2:3], v[10:11], v[2:3]
	v_fma_f64 v[8:9], v[66:67], s[4:5], v[138:139]
	v_fma_f64 v[10:11], v[78:79], s[4:5], -v[146:147]
	v_add_f64 v[4:5], v[12:13], v[4:5]
	v_fma_f64 v[12:13], v[106:107], s[12:13], -v[130:131]
	v_add_f64 v[6:7], v[14:15], v[6:7]
	v_fma_f64 v[14:15], v[114:115], s[22:23], v[118:119]
	s_mov_b32 s1, exec_lo
	s_barrier
	v_fma_f64 v[189:190], v[106:107], s[34:35], -v[156:157]
	v_fma_f64 v[193:194], v[114:115], s[20:21], v[158:159]
	buffer_gl0_inv
	v_fma_f64 v[176:177], v[116:117], s[34:35], v[122:123]
	v_add_f64 v[182:183], v[32:33], v[182:183]
	v_add_f64 v[0:1], v[140:141], v[0:1]
	;; [unrolled: 1-line block ×5, first 2 shown]
	v_mul_f64 v[140:141], v[128:129], s[6:7]
	v_mul_f64 v[142:143], v[108:109], s[6:7]
	v_add_f64 v[4:5], v[166:167], v[4:5]
	v_add_f64 v[6:7], v[12:13], v[6:7]
	v_fma_f64 v[12:13], v[144:145], s[34:35], -v[124:125]
	v_mul_f64 v[166:167], v[128:129], s[26:27]
	v_add_f64 v[0:1], v[14:15], v[0:1]
	v_add_f64 v[2:3], v[168:169], v[2:3]
	v_mul_f64 v[168:169], v[68:69], s[28:29]
	v_fma_f64 v[14:15], v[78:79], s[20:21], -v[162:163]
	v_add_f64 v[187:188], v[170:171], v[8:9]
	v_add_f64 v[172:173], v[172:173], v[10:11]
	v_mul_f64 v[170:171], v[84:85], s[6:7]
	v_fma_f64 v[191:192], v[116:117], s[4:5], v[140:141]
	v_add_f64 v[4:5], v[178:179], v[4:5]
	v_fma_f64 v[178:179], v[144:145], s[4:5], -v[142:143]
	v_add_f64 v[6:7], v[180:181], v[6:7]
	v_fma_f64 v[180:181], v[86:87], s[34:35], v[164:165]
	v_add_f64 v[8:9], v[176:177], v[0:1]
	v_add_f64 v[10:11], v[12:13], v[2:3]
	v_fma_f64 v[12:13], v[102:103], s[34:35], -v[168:169]
	v_add_f64 v[14:15], v[34:35], v[14:15]
	v_add_f64 v[185:186], v[185:186], v[187:188]
	v_fma_f64 v[187:188], v[136:137], s[20:21], -v[160:161]
	v_add_f64 v[189:190], v[189:190], v[172:173]
	v_mul_f64 v[172:173], v[108:109], s[26:27]
	v_add_f64 v[0:1], v[191:192], v[4:5]
	v_mul_f64 v[176:177], v[94:95], s[26:27]
	;; [unrolled: 2-line block ×3, first 2 shown]
	v_add_f64 v[4:5], v[180:181], v[182:183]
	v_fma_f64 v[6:7], v[88:89], s[4:5], v[170:171]
	v_fma_f64 v[182:183], v[116:117], s[12:13], v[166:167]
	v_add_f64 v[12:13], v[12:13], v[14:15]
	v_fma_f64 v[14:15], v[106:107], s[4:5], -v[174:175]
	v_add_f64 v[180:181], v[193:194], v[185:186]
	v_add_f64 v[185:186], v[187:188], v[189:190]
	v_fma_f64 v[187:188], v[144:145], s[12:13], -v[172:173]
	v_fma_f64 v[191:192], v[136:137], s[12:13], -v[178:179]
	v_add_f64 v[4:5], v[6:7], v[4:5]
	v_fma_f64 v[6:7], v[114:115], s[12:13], v[176:177]
	v_add_f64 v[189:190], v[14:15], v[12:13]
	v_add_f64 v[12:13], v[182:183], v[180:181]
	v_mul_f64 v[180:181], v[128:129], s[14:15]
	v_mul_f64 v[182:183], v[108:109], s[14:15]
	v_add_f64 v[14:15], v[187:188], v[185:186]
	v_add_f64 v[4:5], v[6:7], v[4:5]
	v_add_f64 v[6:7], v[191:192], v[189:190]
	v_fma_f64 v[185:186], v[116:117], s[22:23], v[180:181]
	v_fma_f64 v[187:188], v[144:145], s[22:23], -v[182:183]
	v_add_f64 v[4:5], v[185:186], v[4:5]
	v_add_f64 v[6:7], v[187:188], v[6:7]
	v_cmpx_gt_u32_e32 60, v60
	s_cbranch_execz .LBB0_13
; %bb.12:
	v_add_f64 v[30:31], v[34:35], v[30:31]
	v_add_f64 v[28:29], v[32:33], v[28:29]
	v_mul_f64 v[187:188], v[88:89], s[4:5]
	v_mul_f64 v[185:186], v[114:115], s[12:13]
	;; [unrolled: 1-line block ×6, first 2 shown]
	v_add_f64 v[30:31], v[30:31], v[42:43]
	v_add_f64 v[28:29], v[28:29], v[40:41]
	v_mul_f64 v[42:43], v[136:137], s[12:13]
	v_mul_f64 v[40:41], v[144:145], s[22:23]
	v_add_f64 v[170:171], v[187:188], -v[170:171]
	v_mul_f64 v[187:188], v[88:89], s[34:35]
	v_add_f64 v[176:177], v[185:186], -v[176:177]
	v_mul_f64 v[185:186], v[114:115], s[20:21]
	v_add_f64 v[30:31], v[30:31], v[46:47]
	v_add_f64 v[28:29], v[28:29], v[44:45]
	v_mul_f64 v[46:47], v[102:103], s[34:35]
	v_add_f64 v[42:43], v[178:179], v[42:43]
	v_mul_f64 v[178:179], v[136:137], s[20:21]
	v_mul_f64 v[44:45], v[106:107], s[4:5]
	v_add_f64 v[40:41], v[182:183], v[40:41]
	v_mul_f64 v[182:183], v[144:145], s[12:13]
	v_add_f64 v[152:153], v[187:188], -v[152:153]
	v_mul_f64 v[187:188], v[66:67], s[12:13]
	v_add_f64 v[158:159], v[185:186], -v[158:159]
	v_mul_f64 v[185:186], v[86:87], s[4:5]
	v_add_f64 v[30:31], v[30:31], v[54:55]
	v_mul_f64 v[54:55], v[116:117], s[22:23]
	v_add_f64 v[28:29], v[28:29], v[52:53]
	;; [unrolled: 2-line block ×6, first 2 shown]
	v_mul_f64 v[182:183], v[102:103], s[20:21]
	v_add_f64 v[70:71], v[187:188], -v[70:71]
	v_add_f64 v[96:97], v[185:186], -v[96:97]
	v_mul_f64 v[187:188], v[144:145], s[34:35]
	v_mul_f64 v[185:186], v[116:117], s[34:35]
	v_add_f64 v[30:31], v[30:31], v[58:59]
	v_mul_f64 v[58:59], v[66:67], s[20:21]
	v_add_f64 v[54:55], v[54:55], -v[180:181]
	v_mul_f64 v[180:181], v[116:117], s[12:13]
	v_add_f64 v[28:29], v[28:29], v[56:57]
	v_mul_f64 v[56:57], v[86:87], s[34:35]
	v_add_f64 v[52:53], v[162:163], v[52:53]
	;; [unrolled: 2-line block ×4, first 2 shown]
	v_add_f64 v[156:157], v[156:157], v[174:175]
	v_mul_f64 v[174:175], v[86:87], s[20:21]
	v_add_f64 v[112:113], v[112:113], v[182:183]
	v_mul_f64 v[178:179], v[106:107], s[12:13]
	;; [unrolled: 2-line block ×3, first 2 shown]
	v_add_f64 v[30:31], v[30:31], v[50:51]
	v_add_f64 v[58:59], v[58:59], -v[154:155]
	v_mul_f64 v[154:155], v[66:67], s[4:5]
	v_add_f64 v[166:167], v[180:181], -v[166:167]
	v_mul_f64 v[180:181], v[78:79], s[12:13]
	v_mul_f64 v[78:79], v[78:79], s[34:35]
	v_add_f64 v[56:57], v[56:57], -v[164:165]
	v_mul_f64 v[164:165], v[86:87], s[22:23]
	v_add_f64 v[146:147], v[146:147], v[162:163]
	v_mul_f64 v[162:163], v[102:103], s[4:5]
	v_mul_f64 v[102:103], v[102:103], s[12:13]
	v_add_f64 v[28:29], v[28:29], v[48:49]
	v_fma_f64 v[50:51], v[66:67], s[34:35], -v[74:75]
	v_add_f64 v[98:99], v[168:169], -v[98:99]
	v_fma_f64 v[66:67], v[66:67], s[34:35], v[74:75]
	v_add_f64 v[52:53], v[34:35], v[52:53]
	v_add_f64 v[104:105], v[34:35], v[104:105]
	v_add_f64 v[110:111], v[174:175], -v[110:111]
	v_mul_f64 v[168:169], v[136:137], s[22:23]
	v_mul_f64 v[174:175], v[114:115], s[22:23]
	v_add_f64 v[126:127], v[182:183], -v[126:127]
	v_add_f64 v[30:31], v[30:31], v[38:39]
	v_add_f64 v[58:59], v[32:33], v[58:59]
	v_add_f64 v[138:139], v[154:155], -v[138:139]
	v_mul_f64 v[154:155], v[106:107], s[20:21]
	v_add_f64 v[72:73], v[72:73], v[180:181]
	v_fma_f64 v[48:49], v[64:65], s[30:31], v[78:79]
	v_fma_f64 v[64:65], v[64:65], s[28:29], v[78:79]
	v_add_f64 v[148:149], v[164:165], -v[148:149]
	v_mul_f64 v[106:107], v[106:107], s[22:23]
	v_add_f64 v[146:147], v[34:35], v[146:147]
	v_fma_f64 v[74:75], v[68:69], s[26:27], v[102:103]
	v_fma_f64 v[68:69], v[68:69], s[10:11], v[102:103]
	;; [unrolled: 1-line block ×3, first 2 shown]
	v_fma_f64 v[76:77], v[86:87], s[12:13], -v[76:77]
	v_add_f64 v[50:51], v[32:33], v[50:51]
	v_mul_f64 v[164:165], v[88:89], s[20:21]
	v_add_f64 v[100:101], v[100:101], v[162:163]
	v_add_f64 v[98:99], v[32:33], v[98:99]
	v_mul_f64 v[180:181], v[136:137], s[34:35]
	v_mul_f64 v[136:137], v[136:137], s[4:5]
	v_add_f64 v[46:47], v[46:47], v[52:53]
	v_mul_f64 v[162:163], v[114:115], s[34:35]
	v_add_f64 v[28:29], v[28:29], v[36:37]
	v_add_f64 v[52:53], v[56:57], v[58:59]
	;; [unrolled: 1-line block ×7, first 2 shown]
	v_mul_f64 v[64:65], v[128:129], s[16:17]
	v_add_f64 v[66:67], v[130:131], v[178:179]
	v_fma_f64 v[128:129], v[80:81], s[24:25], v[106:107]
	v_fma_f64 v[130:131], v[88:89], s[22:23], v[84:85]
	;; [unrolled: 1-line block ×3, first 2 shown]
	v_fma_f64 v[84:85], v[88:89], s[22:23], -v[84:85]
	v_add_f64 v[56:57], v[150:151], v[146:147]
	v_add_f64 v[88:89], v[112:113], v[104:105]
	;; [unrolled: 1-line block ×4, first 2 shown]
	v_add_f64 v[90:91], v[164:165], -v[90:91]
	s_mov_b32 s11, 0x3fe82f19
	s_mov_b32 s10, s6
	v_mul_f64 v[86:87], v[144:145], s[4:5]
	v_mul_f64 v[144:145], v[144:145], s[20:21]
	v_add_f64 v[36:37], v[134:135], v[180:181]
	v_add_f64 v[44:45], v[44:45], v[46:47]
	;; [unrolled: 1-line block ×9, first 2 shown]
	v_fma_f64 v[96:97], v[82:83], s[10:11], v[136:137]
	v_fma_f64 v[98:99], v[114:115], s[4:5], v[94:95]
	;; [unrolled: 1-line block ×3, first 2 shown]
	v_fma_f64 v[94:95], v[114:115], s[4:5], -v[94:95]
	v_add_f64 v[46:47], v[170:171], v[52:53]
	v_add_f64 v[52:53], v[156:157], v[56:57]
	;; [unrolled: 1-line block ×3, first 2 shown]
	v_mul_f64 v[78:79], v[116:117], s[4:5]
	v_add_f64 v[74:75], v[120:121], v[168:169]
	v_add_f64 v[76:77], v[174:175], -v[118:119]
	v_add_f64 v[38:39], v[162:163], -v[132:133]
	v_add_f64 v[26:27], v[30:31], v[26:27]
	v_add_f64 v[24:25], v[28:29], v[24:25]
	;; [unrolled: 1-line block ×3, first 2 shown]
	v_fma_f64 v[84:85], v[116:117], s[20:21], v[64:65]
	v_add_f64 v[56:57], v[152:153], v[58:59]
	v_add_f64 v[58:59], v[66:67], v[88:89]
	;; [unrolled: 1-line block ×8, first 2 shown]
	v_fma_f64 v[86:87], v[108:109], s[16:17], v[144:145]
	v_fma_f64 v[64:65], v[116:117], s[20:21], -v[64:65]
	v_add_f64 v[32:33], v[124:125], v[187:188]
	v_add_f64 v[42:43], v[42:43], v[44:45]
	;; [unrolled: 1-line block ×4, first 2 shown]
	v_add_f64 v[72:73], v[78:79], -v[140:141]
	v_add_f64 v[78:79], v[185:186], -v[122:123]
	v_add_f64 v[46:47], v[160:161], v[52:53]
	v_fma_f64 v[80:81], v[108:109], s[18:19], v[144:145]
	v_add_f64 v[52:53], v[158:159], v[56:57]
	v_add_f64 v[36:37], v[36:37], v[58:59]
	;; [unrolled: 1-line block ×12, first 2 shown]
	v_mad_u32_u24 v44, 0xa0, v60, v184
	v_add_f64 v[26:27], v[172:173], v[46:47]
	v_add_f64 v[24:25], v[166:167], v[52:53]
	;; [unrolled: 1-line block ×12, first 2 shown]
	ds_write_b128 v44, v[4:7] offset:96
	ds_write_b128 v44, v[12:15] offset:112
	;; [unrolled: 1-line block ×9, first 2 shown]
	ds_write_b128 v44, v[16:19]
	ds_write_b128 v44, v[40:43] offset:160
.LBB0_13:
	s_or_b32 exec_lo, exec_lo, s1
	v_and_b32_e32 v16, 0xff, v60
	s_waitcnt lgkmcnt(0)
	s_barrier
	buffer_gl0_inv
	s_mov_b32 s0, 0xe8584caa
	v_mul_lo_u16 v16, 0x75, v16
	s_mov_b32 s1, 0x3febb67a
	s_mov_b32 s5, 0xbfebb67a
	;; [unrolled: 1-line block ×3, first 2 shown]
	v_lshrrev_b16 v16, 8, v16
	v_sub_nc_u16 v17, v60, v16
	v_lshrrev_b16 v17, 1, v17
	v_and_b32_e32 v17, 0x7f, v17
	v_add_nc_u16 v16, v17, v16
	v_mov_b32_e32 v17, 5
	v_lshrrev_b16 v61, 3, v16
	v_mul_lo_u16 v16, v61, 11
	v_sub_nc_u16 v66, v60, v16
	v_mul_u32_u24_sdwa v16, v66, v17 dst_sel:DWORD dst_unused:UNUSED_PAD src0_sel:BYTE_0 src1_sel:DWORD
	v_lshlrev_b32_e32 v32, 4, v16
	s_clause 0x4
	global_load_dwordx4 v[16:19], v32, s[8:9] offset:32
	global_load_dwordx4 v[20:23], v32, s[8:9] offset:64
	global_load_dwordx4 v[24:27], v32, s[8:9]
	global_load_dwordx4 v[28:31], v32, s[8:9] offset:16
	global_load_dwordx4 v[32:35], v32, s[8:9] offset:48
	ds_read_b128 v[36:39], v184 offset:5280
	ds_read_b128 v[40:43], v184 offset:8800
	;; [unrolled: 1-line block ×5, first 2 shown]
	s_waitcnt vmcnt(4) lgkmcnt(4)
	v_mul_f64 v[56:57], v[38:39], v[18:19]
	v_mul_f64 v[18:19], v[36:37], v[18:19]
	s_waitcnt vmcnt(3) lgkmcnt(3)
	v_mul_f64 v[58:59], v[40:41], v[22:23]
	v_mul_f64 v[22:23], v[42:43], v[22:23]
	;; [unrolled: 3-line block ×3, first 2 shown]
	v_fma_f64 v[36:37], v[36:37], v[16:17], -v[56:57]
	v_fma_f64 v[38:39], v[38:39], v[16:17], v[18:19]
	v_fma_f64 v[42:43], v[42:43], v[20:21], v[58:59]
	v_fma_f64 v[20:21], v[40:41], v[20:21], -v[22:23]
	s_waitcnt vmcnt(1) lgkmcnt(1)
	v_mul_f64 v[16:17], v[50:51], v[30:31]
	v_mul_f64 v[18:19], v[48:49], v[30:31]
	s_waitcnt vmcnt(0) lgkmcnt(0)
	v_mul_f64 v[22:23], v[54:55], v[34:35]
	v_mul_f64 v[30:31], v[52:53], v[34:35]
	v_fma_f64 v[34:35], v[44:45], v[24:25], -v[64:65]
	v_fma_f64 v[24:25], v[46:47], v[24:25], v[26:27]
	v_add_f64 v[26:27], v[38:39], v[42:43]
	v_add_f64 v[40:41], v[36:37], v[20:21]
	v_fma_f64 v[44:45], v[48:49], v[28:29], -v[16:17]
	v_fma_f64 v[28:29], v[50:51], v[28:29], v[18:19]
	v_fma_f64 v[22:23], v[52:53], v[32:33], -v[22:23]
	v_fma_f64 v[30:31], v[54:55], v[32:33], v[30:31]
	v_add_f64 v[32:33], v[38:39], -v[42:43]
	v_add_f64 v[46:47], v[36:37], -v[20:21]
	ds_read_b128 v[16:19], v184
	s_waitcnt lgkmcnt(0)
	s_barrier
	buffer_gl0_inv
	v_fma_f64 v[26:27], v[26:27], -0.5, v[24:25]
	v_fma_f64 v[40:41], v[40:41], -0.5, v[34:35]
	v_add_f64 v[34:35], v[34:35], v[36:37]
	v_add_f64 v[24:25], v[24:25], v[38:39]
	;; [unrolled: 1-line block ×4, first 2 shown]
	v_add_f64 v[36:37], v[44:45], -v[22:23]
	v_fma_f64 v[52:53], v[46:47], s[4:5], v[26:27]
	v_fma_f64 v[54:55], v[32:33], s[4:5], v[40:41]
	;; [unrolled: 1-line block ×4, first 2 shown]
	v_add_f64 v[40:41], v[16:17], v[44:45]
	v_add_f64 v[46:47], v[28:29], -v[30:31]
	v_add_f64 v[28:29], v[18:19], v[28:29]
	v_fma_f64 v[16:17], v[48:49], -0.5, v[16:17]
	v_fma_f64 v[18:19], v[50:51], -0.5, v[18:19]
	v_add_f64 v[20:21], v[34:35], v[20:21]
	v_add_f64 v[24:25], v[24:25], v[42:43]
	v_mul_f64 v[38:39], v[52:53], s[0:1]
	v_mul_f64 v[44:45], v[54:55], -0.5
	v_mul_f64 v[48:49], v[32:33], s[4:5]
	v_mul_f64 v[50:51], v[26:27], -0.5
	v_add_f64 v[22:23], v[40:41], v[22:23]
	v_add_f64 v[28:29], v[28:29], v[30:31]
	v_fma_f64 v[40:41], v[46:47], s[0:1], v[16:17]
	v_fma_f64 v[42:43], v[46:47], s[4:5], v[16:17]
	;; [unrolled: 1-line block ×4, first 2 shown]
	v_fma_f64 v[36:37], v[32:33], 0.5, v[38:39]
	v_fma_f64 v[26:27], v[26:27], s[0:1], v[44:45]
	v_fma_f64 v[38:39], v[52:53], 0.5, v[48:49]
	v_fma_f64 v[44:45], v[54:55], s[4:5], v[50:51]
	v_add_f64 v[16:17], v[22:23], v[20:21]
	v_add_f64 v[32:33], v[22:23], -v[20:21]
	v_add_f64 v[18:19], v[28:29], v[24:25]
	v_add_f64 v[34:35], v[28:29], -v[24:25]
	v_cmp_gt_u32_e64 s0, 0x42, v60
	v_add_f64 v[28:29], v[40:41], v[36:37]
	v_add_f64 v[20:21], v[42:43], v[26:27]
	;; [unrolled: 1-line block ×4, first 2 shown]
	v_add_f64 v[24:25], v[40:41], -v[36:37]
	v_add_f64 v[36:37], v[42:43], -v[26:27]
	;; [unrolled: 1-line block ×4, first 2 shown]
	v_mov_b32_e32 v40, 0x420
	v_mov_b32_e32 v41, 4
	v_mul_u32_u24_sdwa v40, v61, v40 dst_sel:DWORD dst_unused:UNUSED_PAD src0_sel:WORD_0 src1_sel:DWORD
	v_lshlrev_b32_sdwa v41, v41, v66 dst_sel:DWORD dst_unused:UNUSED_PAD src0_sel:DWORD src1_sel:BYTE_0
	v_add3_u32 v40, 0, v40, v41
	ds_write_b128 v40, v[16:19]
	ds_write_b128 v40, v[32:35] offset:528
	ds_write_b128 v40, v[28:31] offset:176
	;; [unrolled: 1-line block ×5, first 2 shown]
	s_waitcnt lgkmcnt(0)
	s_barrier
	buffer_gl0_inv
	s_and_saveexec_b32 s1, s0
	s_cbranch_execz .LBB0_15
; %bb.14:
	ds_read_b128 v[16:19], v184
	ds_read_b128 v[28:31], v184 offset:1056
	ds_read_b128 v[20:23], v184 offset:2112
	;; [unrolled: 1-line block ×9, first 2 shown]
.LBB0_15:
	s_or_b32 exec_lo, exec_lo, s1
	s_waitcnt lgkmcnt(0)
	s_barrier
	buffer_gl0_inv
	s_and_saveexec_b32 s16, s0
	s_cbranch_execz .LBB0_17
; %bb.16:
	v_add_nc_u32_e32 v40, 0xffffffbe, v60
	v_mov_b32_e32 v41, 0
	s_mov_b32 s13, 0xbfee6f0e
	s_mov_b32 s4, 0x4755a5e
	s_mov_b32 s5, 0x3fe2cf23
	v_cndmask_b32_e64 v40, v40, v60, s0
	s_mov_b32 s15, 0xbfe2cf23
	s_mov_b32 s14, s4
	;; [unrolled: 1-line block ×4, first 2 shown]
	v_mul_i32_i24_e32 v40, 9, v40
	s_mov_b32 s10, 0x9b97f4a8
	s_mov_b32 s11, 0x3fe9e377
	v_lshlrev_b64 v[40:41], 4, v[40:41]
	v_add_co_u32 v76, s0, s8, v40
	v_add_co_ci_u32_e64 v77, s0, s9, v41, s0
	s_mov_b32 s0, 0x134454ff
	s_mov_b32 s1, 0x3fee6f0e
	;; [unrolled: 1-line block ×3, first 2 shown]
	s_clause 0x8
	global_load_dwordx4 v[40:43], v[76:77], off offset:912
	global_load_dwordx4 v[44:47], v[76:77], off offset:944
	;; [unrolled: 1-line block ×9, first 2 shown]
	s_waitcnt vmcnt(8)
	v_mul_f64 v[80:81], v[34:35], v[42:43]
	s_waitcnt vmcnt(7)
	v_mul_f64 v[82:83], v[38:39], v[46:47]
	v_mul_f64 v[42:43], v[32:33], v[42:43]
	v_mul_f64 v[46:47], v[36:37], v[46:47]
	s_waitcnt vmcnt(6)
	v_mul_f64 v[84:85], v[12:13], v[50:51]
	s_waitcnt vmcnt(5)
	v_mul_f64 v[86:87], v[8:9], v[54:55]
	v_mul_f64 v[54:55], v[10:11], v[54:55]
	;; [unrolled: 1-line block ×3, first 2 shown]
	s_waitcnt vmcnt(0)
	v_mul_f64 v[96:97], v[30:31], v[78:79]
	v_mul_f64 v[78:79], v[28:29], v[78:79]
	;; [unrolled: 1-line block ×6, first 2 shown]
	v_fma_f64 v[32:33], v[32:33], v[40:41], -v[80:81]
	v_fma_f64 v[36:37], v[36:37], v[44:45], -v[82:83]
	v_fma_f64 v[34:35], v[34:35], v[40:41], v[42:43]
	v_fma_f64 v[38:39], v[38:39], v[44:45], v[46:47]
	v_fma_f64 v[14:15], v[14:15], v[48:49], v[84:85]
	v_fma_f64 v[10:11], v[10:11], v[52:53], v[86:87]
	v_fma_f64 v[8:9], v[8:9], v[52:53], -v[54:55]
	v_fma_f64 v[12:13], v[12:13], v[48:49], -v[50:51]
	v_mul_f64 v[40:41], v[26:27], v[66:67]
	v_mul_f64 v[42:43], v[6:7], v[74:75]
	v_mul_f64 v[44:45], v[22:23], v[58:59]
	v_mul_f64 v[46:47], v[2:3], v[70:71]
	v_fma_f64 v[28:29], v[28:29], v[76:77], -v[96:97]
	v_fma_f64 v[30:31], v[30:31], v[76:77], v[78:79]
	v_fma_f64 v[22:23], v[22:23], v[56:57], v[88:89]
	;; [unrolled: 1-line block ×5, first 2 shown]
	v_add_f64 v[70:71], v[32:33], -v[36:37]
	v_add_f64 v[84:85], v[36:37], -v[32:33]
	;; [unrolled: 1-line block ×3, first 2 shown]
	v_add_f64 v[48:49], v[38:39], v[14:15]
	v_add_f64 v[50:51], v[34:35], v[10:11]
	v_add_f64 v[52:53], v[32:33], v[8:9]
	v_add_f64 v[54:55], v[36:37], v[12:13]
	v_fma_f64 v[24:25], v[24:25], v[64:65], -v[40:41]
	v_fma_f64 v[4:5], v[4:5], v[72:73], -v[42:43]
	;; [unrolled: 1-line block ×4, first 2 shown]
	v_add_f64 v[40:41], v[34:35], -v[10:11]
	v_add_f64 v[42:43], v[38:39], -v[14:15]
	;; [unrolled: 1-line block ×5, first 2 shown]
	v_add_f64 v[68:69], v[26:27], v[6:7]
	v_add_f64 v[76:77], v[10:11], -v[14:15]
	v_add_f64 v[82:83], v[22:23], v[2:3]
	v_add_f64 v[86:87], v[12:13], -v[8:9]
	v_add_f64 v[88:89], v[38:39], -v[34:35]
	;; [unrolled: 1-line block ×3, first 2 shown]
	v_add_f64 v[92:93], v[18:19], v[22:23]
	v_add_f64 v[56:57], v[22:23], -v[26:27]
	v_add_f64 v[58:59], v[2:3], -v[6:7]
	v_fma_f64 v[48:49], v[48:49], -0.5, v[30:31]
	v_fma_f64 v[50:51], v[50:51], -0.5, v[30:31]
	v_fma_f64 v[52:53], v[52:53], -0.5, v[28:29]
	v_fma_f64 v[54:55], v[54:55], -0.5, v[28:29]
	v_add_f64 v[30:31], v[30:31], v[34:35]
	v_add_f64 v[100:101], v[24:25], v[4:5]
	;; [unrolled: 1-line block ×5, first 2 shown]
	v_add_f64 v[64:65], v[24:25], -v[4:5]
	v_add_f64 v[66:67], v[20:21], -v[0:1]
	;; [unrolled: 1-line block ×6, first 2 shown]
	v_fma_f64 v[32:33], v[68:69], -0.5, v[18:19]
	v_add_f64 v[68:69], v[70:71], v[72:73]
	v_add_f64 v[70:71], v[74:75], v[76:77]
	v_fma_f64 v[18:19], v[82:83], -0.5, v[18:19]
	v_add_f64 v[72:73], v[84:85], v[86:87]
	v_add_f64 v[74:75], v[88:89], v[90:91]
	v_add_f64 v[104:105], v[20:21], -v[24:25]
	v_fma_f64 v[34:35], v[46:47], s[0:1], v[48:49]
	v_fma_f64 v[94:95], v[44:45], s[12:13], v[50:51]
	v_fma_f64 v[96:97], v[42:43], s[12:13], v[52:53]
	v_fma_f64 v[98:99], v[40:41], s[0:1], v[54:55]
	v_fma_f64 v[48:49], v[46:47], s[12:13], v[48:49]
	v_fma_f64 v[50:51], v[44:45], s[0:1], v[50:51]
	v_fma_f64 v[52:53], v[42:43], s[0:1], v[52:53]
	v_fma_f64 v[54:55], v[40:41], s[12:13], v[54:55]
	v_fma_f64 v[86:87], v[100:101], -0.5, v[16:17]
	v_fma_f64 v[16:17], v[102:103], -0.5, v[16:17]
	v_add_f64 v[20:21], v[24:25], -v[20:21]
	v_add_f64 v[26:27], v[92:93], v[26:27]
	v_add_f64 v[30:31], v[30:31], v[38:39]
	;; [unrolled: 1-line block ×4, first 2 shown]
	v_add_f64 v[106:107], v[0:1], -v[4:5]
	v_add_f64 v[88:89], v[4:5], -v[0:1]
	v_fma_f64 v[36:37], v[66:67], s[0:1], v[32:33]
	v_fma_f64 v[38:39], v[64:65], s[12:13], v[18:19]
	;; [unrolled: 1-line block ×12, first 2 shown]
	v_add_f64 v[48:49], v[56:57], v[58:59]
	v_add_f64 v[50:51], v[78:79], v[80:81]
	v_fma_f64 v[78:79], v[22:23], s[0:1], v[86:87]
	v_fma_f64 v[58:59], v[22:23], s[12:13], v[86:87]
	v_add_f64 v[6:7], v[26:27], v[6:7]
	v_add_f64 v[14:15], v[30:31], v[14:15]
	;; [unrolled: 1-line block ×5, first 2 shown]
	v_fma_f64 v[24:25], v[64:65], s[4:5], v[36:37]
	v_fma_f64 v[26:27], v[66:67], s[4:5], v[38:39]
	v_fma_f64 v[18:19], v[66:67], s[14:15], v[18:19]
	v_fma_f64 v[28:29], v[64:65], s[14:15], v[32:33]
	v_fma_f64 v[34:35], v[70:71], s[6:7], v[34:35]
	v_fma_f64 v[52:53], v[74:75], s[6:7], v[76:77]
	v_fma_f64 v[54:55], v[72:73], s[6:7], v[82:83]
	v_fma_f64 v[56:57], v[68:69], s[6:7], v[84:85]
	v_fma_f64 v[76:77], v[108:109], s[0:1], v[16:17]
	v_fma_f64 v[16:17], v[108:109], s[12:13], v[16:17]
	v_fma_f64 v[44:45], v[70:71], s[6:7], v[44:45]
	v_fma_f64 v[46:47], v[74:75], s[6:7], v[46:47]
	v_fma_f64 v[40:41], v[72:73], s[6:7], v[40:41]
	v_fma_f64 v[42:43], v[68:69], s[6:7], v[42:43]
	v_add_f64 v[68:69], v[104:105], v[106:107]
	v_fma_f64 v[58:59], v[108:109], s[14:15], v[58:59]
	v_add_f64 v[6:7], v[6:7], v[2:3]
	v_add_f64 v[10:11], v[14:15], v[10:11]
	;; [unrolled: 1-line block ×4, first 2 shown]
	v_fma_f64 v[12:13], v[48:49], s[6:7], v[24:25]
	v_fma_f64 v[24:25], v[50:51], s[6:7], v[26:27]
	;; [unrolled: 1-line block ×4, first 2 shown]
	v_mul_f64 v[30:31], v[34:35], s[10:11]
	v_mul_f64 v[32:33], v[52:53], s[6:7]
	;; [unrolled: 1-line block ×4, first 2 shown]
	v_fma_f64 v[64:65], v[22:23], s[14:15], v[76:77]
	v_fma_f64 v[16:17], v[22:23], s[4:5], v[16:17]
	;; [unrolled: 1-line block ×3, first 2 shown]
	v_mul_f64 v[66:67], v[44:45], s[4:5]
	v_mul_f64 v[70:71], v[46:47], s[0:1]
	;; [unrolled: 1-line block ×4, first 2 shown]
	v_add_f64 v[2:3], v[6:7], -v[10:11]
	v_add_f64 v[6:7], v[6:7], v[10:11]
	v_add_f64 v[0:1], v[4:5], -v[8:9]
	v_add_f64 v[4:5], v[4:5], v[8:9]
	v_fma_f64 v[26:27], v[42:43], s[14:15], -v[30:31]
	v_fma_f64 v[30:31], v[40:41], s[12:13], -v[32:33]
	v_fma_f64 v[32:33], v[46:47], s[6:7], v[36:37]
	v_fma_f64 v[36:37], v[44:45], s[10:11], v[38:39]
	;; [unrolled: 1-line block ×7, first 2 shown]
	v_fma_f64 v[48:49], v[52:53], s[0:1], -v[72:73]
	v_fma_f64 v[40:41], v[68:69], s[6:7], v[58:59]
	v_fma_f64 v[52:53], v[34:35], s[4:5], -v[74:75]
	v_add_f64 v[10:11], v[12:13], -v[26:27]
	v_add_f64 v[14:15], v[24:25], -v[30:31]
	;; [unrolled: 1-line block ×4, first 2 shown]
	v_add_f64 v[38:39], v[28:29], v[36:37]
	v_add_f64 v[34:35], v[50:51], v[32:33]
	;; [unrolled: 1-line block ×8, first 2 shown]
	v_add_f64 v[20:21], v[20:21], -v[44:45]
	v_add_f64 v[16:17], v[16:17], -v[46:47]
	;; [unrolled: 1-line block ×4, first 2 shown]
	ds_write_b128 v184, v[4:7]
	ds_write_b128 v184, v[0:3] offset:5280
	ds_write_b128 v184, v[36:39] offset:1056
	;; [unrolled: 1-line block ×9, first 2 shown]
.LBB0_17:
	s_or_b32 exec_lo, exec_lo, s16
	s_waitcnt lgkmcnt(0)
	s_barrier
	buffer_gl0_inv
	ds_read_b128 v[4:7], v184
	v_lshlrev_b32_e32 v0, 4, v60
	s_add_u32 s1, s8, 0x2890
	s_addc_u32 s4, s9, 0
	s_mov_b32 s5, exec_lo
                                        ; implicit-def: $vgpr8_vgpr9
                                        ; implicit-def: $vgpr10_vgpr11
                                        ; implicit-def: $vgpr12_vgpr13
	v_sub_nc_u32_e32 v14, 0, v0
                                        ; implicit-def: $vgpr0_vgpr1
	v_cmpx_ne_u32_e32 0, v60
	s_xor_b32 s5, exec_lo, s5
	s_cbranch_execz .LBB0_19
; %bb.18:
	v_mov_b32_e32 v61, 0
	v_lshlrev_b64 v[0:1], 4, v[60:61]
	v_add_co_u32 v0, s0, s1, v0
	v_add_co_ci_u32_e64 v1, s0, s4, v1, s0
	global_load_dwordx4 v[15:18], v[0:1], off
	ds_read_b128 v[0:3], v14 offset:10560
	s_waitcnt lgkmcnt(0)
	v_add_f64 v[8:9], v[4:5], -v[0:1]
	v_add_f64 v[10:11], v[6:7], v[2:3]
	v_add_f64 v[2:3], v[6:7], -v[2:3]
	v_add_f64 v[0:1], v[4:5], v[0:1]
	v_mul_f64 v[6:7], v[8:9], 0.5
	v_mul_f64 v[4:5], v[10:11], 0.5
	;; [unrolled: 1-line block ×3, first 2 shown]
	s_waitcnt vmcnt(0)
	v_mul_f64 v[8:9], v[6:7], v[17:18]
	v_fma_f64 v[10:11], v[4:5], v[17:18], v[2:3]
	v_fma_f64 v[2:3], v[4:5], v[17:18], -v[2:3]
	v_fma_f64 v[12:13], v[0:1], 0.5, v[8:9]
	v_fma_f64 v[0:1], v[0:1], 0.5, -v[8:9]
	v_fma_f64 v[10:11], -v[15:16], v[6:7], v[10:11]
	v_fma_f64 v[2:3], -v[15:16], v[6:7], v[2:3]
	v_fma_f64 v[8:9], v[4:5], v[15:16], v[12:13]
	v_mov_b32_e32 v12, v60
	v_fma_f64 v[0:1], -v[4:5], v[15:16], v[0:1]
	v_mov_b32_e32 v13, v61
                                        ; implicit-def: $vgpr4_vgpr5
.LBB0_19:
	s_andn2_saveexec_b32 s0, s5
	s_cbranch_execz .LBB0_21
; %bb.20:
	v_mov_b32_e32 v17, 0
	s_waitcnt lgkmcnt(0)
	v_add_f64 v[8:9], v[4:5], v[6:7]
	v_add_f64 v[0:1], v[4:5], -v[6:7]
	v_mov_b32_e32 v10, 0
	v_mov_b32_e32 v11, 0
	ds_read_b64 v[15:16], v17 offset:5288
	v_mov_b32_e32 v12, 0
	v_mov_b32_e32 v2, v10
	;; [unrolled: 1-line block ×4, first 2 shown]
	s_waitcnt lgkmcnt(0)
	v_xor_b32_e32 v16, 0x80000000, v16
	ds_write_b64 v17, v[15:16] offset:5288
.LBB0_21:
	s_or_b32 exec_lo, exec_lo, s0
	s_waitcnt lgkmcnt(0)
	v_lshlrev_b64 v[4:5], 4, v[12:13]
	v_add_co_u32 v6, s0, s1, v4
	v_add_co_ci_u32_e64 v7, s0, s4, v5, s0
	global_load_dwordx4 v[15:18], v[6:7], off offset:1760
	v_add_co_u32 v6, s0, 0x800, v6
	v_add_co_ci_u32_e64 v7, s0, 0, v7, s0
	global_load_dwordx4 v[19:22], v[6:7], off offset:1472
	ds_write2_b64 v184, v[8:9], v[10:11] offset1:1
	ds_write_b128 v14, v[0:3] offset:10560
	ds_read_b128 v[0:3], v184 offset:1760
	ds_read_b128 v[6:9], v14 offset:8800
	s_waitcnt lgkmcnt(0)
	v_add_f64 v[10:11], v[0:1], -v[6:7]
	v_add_f64 v[12:13], v[2:3], v[8:9]
	v_add_f64 v[2:3], v[2:3], -v[8:9]
	v_add_f64 v[0:1], v[0:1], v[6:7]
	v_mul_f64 v[8:9], v[10:11], 0.5
	v_mul_f64 v[10:11], v[12:13], 0.5
	;; [unrolled: 1-line block ×3, first 2 shown]
	s_waitcnt vmcnt(1)
	v_mul_f64 v[6:7], v[8:9], v[17:18]
	v_fma_f64 v[12:13], v[10:11], v[17:18], v[2:3]
	v_fma_f64 v[2:3], v[10:11], v[17:18], -v[2:3]
	v_fma_f64 v[17:18], v[0:1], 0.5, v[6:7]
	v_fma_f64 v[0:1], v[0:1], 0.5, -v[6:7]
	v_fma_f64 v[6:7], -v[15:16], v[8:9], v[12:13]
	v_fma_f64 v[2:3], -v[15:16], v[8:9], v[2:3]
	v_fma_f64 v[8:9], v[10:11], v[15:16], v[17:18]
	v_fma_f64 v[0:1], -v[10:11], v[15:16], v[0:1]
	ds_write2_b64 v184, v[8:9], v[6:7] offset0:220 offset1:221
	ds_write_b128 v14, v[0:3] offset:8800
	ds_read_b128 v[0:3], v184 offset:3520
	ds_read_b128 v[6:9], v14 offset:7040
	s_waitcnt lgkmcnt(0)
	v_add_f64 v[10:11], v[0:1], -v[6:7]
	v_add_f64 v[12:13], v[2:3], v[8:9]
	v_add_f64 v[2:3], v[2:3], -v[8:9]
	v_add_f64 v[0:1], v[0:1], v[6:7]
	v_mul_f64 v[8:9], v[10:11], 0.5
	v_mul_f64 v[10:11], v[12:13], 0.5
	;; [unrolled: 1-line block ×3, first 2 shown]
	s_waitcnt vmcnt(0)
	v_mul_f64 v[6:7], v[8:9], v[21:22]
	v_fma_f64 v[12:13], v[10:11], v[21:22], v[2:3]
	v_fma_f64 v[2:3], v[10:11], v[21:22], -v[2:3]
	v_fma_f64 v[15:16], v[0:1], 0.5, v[6:7]
	v_fma_f64 v[0:1], v[0:1], 0.5, -v[6:7]
	v_fma_f64 v[6:7], -v[19:20], v[8:9], v[12:13]
	v_fma_f64 v[2:3], -v[19:20], v[8:9], v[2:3]
	v_fma_f64 v[8:9], v[10:11], v[19:20], v[15:16]
	v_fma_f64 v[0:1], -v[10:11], v[19:20], v[0:1]
	v_add_nc_u32_e32 v10, 0x800, v184
	ds_write2_b64 v10, v[8:9], v[6:7] offset0:184 offset1:185
	ds_write_b128 v14, v[0:3] offset:7040
	s_waitcnt lgkmcnt(0)
	s_barrier
	buffer_gl0_inv
	s_and_saveexec_b32 s0, vcc_lo
	s_cbranch_execz .LBB0_24
; %bb.22:
	ds_read_b128 v[6:9], v184
	ds_read_b128 v[10:13], v184 offset:1760
	v_add_co_u32 v0, vcc_lo, s2, v62
	v_add_co_ci_u32_e32 v1, vcc_lo, s3, v63, vcc_lo
	ds_read_b128 v[14:17], v184 offset:3520
	ds_read_b128 v[18:21], v184 offset:5280
	v_add_co_u32 v26, vcc_lo, v0, v4
	v_add_co_ci_u32_e32 v27, vcc_lo, v1, v5, vcc_lo
	ds_read_b128 v[2:5], v184 offset:7040
	ds_read_b128 v[22:25], v184 offset:8800
	v_add_co_u32 v28, vcc_lo, 0x800, v26
	v_add_co_ci_u32_e32 v29, vcc_lo, 0, v27, vcc_lo
	s_waitcnt lgkmcnt(5)
	global_store_dwordx4 v[26:27], v[6:9], off
	s_waitcnt lgkmcnt(4)
	global_store_dwordx4 v[26:27], v[10:13], off offset:1760
	v_add_co_u32 v6, vcc_lo, 0x1000, v26
	v_add_co_ci_u32_e32 v7, vcc_lo, 0, v27, vcc_lo
	v_add_co_u32 v8, vcc_lo, 0x1800, v26
	v_add_co_ci_u32_e32 v9, vcc_lo, 0, v27, vcc_lo
	;; [unrolled: 2-line block ×3, first 2 shown]
	v_cmp_eq_u32_e32 vcc_lo, 0x6d, v60
	s_waitcnt lgkmcnt(3)
	global_store_dwordx4 v[28:29], v[14:17], off offset:1472
	s_waitcnt lgkmcnt(2)
	global_store_dwordx4 v[6:7], v[18:21], off offset:1184
	;; [unrolled: 2-line block ×4, first 2 shown]
	s_and_b32 exec_lo, exec_lo, vcc_lo
	s_cbranch_execz .LBB0_24
; %bb.23:
	v_mov_b32_e32 v2, 0
	v_add_co_u32 v0, vcc_lo, 0x2800, v0
	v_add_co_ci_u32_e32 v1, vcc_lo, 0, v1, vcc_lo
	ds_read_b128 v[2:5], v2 offset:10560
	s_waitcnt lgkmcnt(0)
	global_store_dwordx4 v[0:1], v[2:5], off offset:320
.LBB0_24:
	s_endpgm
	.section	.rodata,"a",@progbits
	.p2align	6, 0x0
	.amdhsa_kernel fft_rtc_fwd_len660_factors_11_6_10_wgs_110_tpt_110_halfLds_dp_ip_CI_unitstride_sbrr_R2C_dirReg
		.amdhsa_group_segment_fixed_size 0
		.amdhsa_private_segment_fixed_size 0
		.amdhsa_kernarg_size 88
		.amdhsa_user_sgpr_count 6
		.amdhsa_user_sgpr_private_segment_buffer 1
		.amdhsa_user_sgpr_dispatch_ptr 0
		.amdhsa_user_sgpr_queue_ptr 0
		.amdhsa_user_sgpr_kernarg_segment_ptr 1
		.amdhsa_user_sgpr_dispatch_id 0
		.amdhsa_user_sgpr_flat_scratch_init 0
		.amdhsa_user_sgpr_private_segment_size 0
		.amdhsa_wavefront_size32 1
		.amdhsa_uses_dynamic_stack 0
		.amdhsa_system_sgpr_private_segment_wavefront_offset 0
		.amdhsa_system_sgpr_workgroup_id_x 1
		.amdhsa_system_sgpr_workgroup_id_y 0
		.amdhsa_system_sgpr_workgroup_id_z 0
		.amdhsa_system_sgpr_workgroup_info 0
		.amdhsa_system_vgpr_workitem_id 0
		.amdhsa_next_free_vgpr 195
		.amdhsa_next_free_sgpr 36
		.amdhsa_reserve_vcc 1
		.amdhsa_reserve_flat_scratch 0
		.amdhsa_float_round_mode_32 0
		.amdhsa_float_round_mode_16_64 0
		.amdhsa_float_denorm_mode_32 3
		.amdhsa_float_denorm_mode_16_64 3
		.amdhsa_dx10_clamp 1
		.amdhsa_ieee_mode 1
		.amdhsa_fp16_overflow 0
		.amdhsa_workgroup_processor_mode 1
		.amdhsa_memory_ordered 1
		.amdhsa_forward_progress 0
		.amdhsa_shared_vgpr_count 0
		.amdhsa_exception_fp_ieee_invalid_op 0
		.amdhsa_exception_fp_denorm_src 0
		.amdhsa_exception_fp_ieee_div_zero 0
		.amdhsa_exception_fp_ieee_overflow 0
		.amdhsa_exception_fp_ieee_underflow 0
		.amdhsa_exception_fp_ieee_inexact 0
		.amdhsa_exception_int_div_zero 0
	.end_amdhsa_kernel
	.text
.Lfunc_end0:
	.size	fft_rtc_fwd_len660_factors_11_6_10_wgs_110_tpt_110_halfLds_dp_ip_CI_unitstride_sbrr_R2C_dirReg, .Lfunc_end0-fft_rtc_fwd_len660_factors_11_6_10_wgs_110_tpt_110_halfLds_dp_ip_CI_unitstride_sbrr_R2C_dirReg
                                        ; -- End function
	.section	.AMDGPU.csdata,"",@progbits
; Kernel info:
; codeLenInByte = 8404
; NumSgprs: 38
; NumVgprs: 195
; ScratchSize: 0
; MemoryBound: 0
; FloatMode: 240
; IeeeMode: 1
; LDSByteSize: 0 bytes/workgroup (compile time only)
; SGPRBlocks: 4
; VGPRBlocks: 24
; NumSGPRsForWavesPerEU: 38
; NumVGPRsForWavesPerEU: 195
; Occupancy: 4
; WaveLimiterHint : 1
; COMPUTE_PGM_RSRC2:SCRATCH_EN: 0
; COMPUTE_PGM_RSRC2:USER_SGPR: 6
; COMPUTE_PGM_RSRC2:TRAP_HANDLER: 0
; COMPUTE_PGM_RSRC2:TGID_X_EN: 1
; COMPUTE_PGM_RSRC2:TGID_Y_EN: 0
; COMPUTE_PGM_RSRC2:TGID_Z_EN: 0
; COMPUTE_PGM_RSRC2:TIDIG_COMP_CNT: 0
	.text
	.p2alignl 6, 3214868480
	.fill 48, 4, 3214868480
	.type	__hip_cuid_2c6c8d97c593e76e,@object ; @__hip_cuid_2c6c8d97c593e76e
	.section	.bss,"aw",@nobits
	.globl	__hip_cuid_2c6c8d97c593e76e
__hip_cuid_2c6c8d97c593e76e:
	.byte	0                               ; 0x0
	.size	__hip_cuid_2c6c8d97c593e76e, 1

	.ident	"AMD clang version 19.0.0git (https://github.com/RadeonOpenCompute/llvm-project roc-6.4.0 25133 c7fe45cf4b819c5991fe208aaa96edf142730f1d)"
	.section	".note.GNU-stack","",@progbits
	.addrsig
	.addrsig_sym __hip_cuid_2c6c8d97c593e76e
	.amdgpu_metadata
---
amdhsa.kernels:
  - .args:
      - .actual_access:  read_only
        .address_space:  global
        .offset:         0
        .size:           8
        .value_kind:     global_buffer
      - .offset:         8
        .size:           8
        .value_kind:     by_value
      - .actual_access:  read_only
        .address_space:  global
        .offset:         16
        .size:           8
        .value_kind:     global_buffer
      - .actual_access:  read_only
        .address_space:  global
        .offset:         24
        .size:           8
        .value_kind:     global_buffer
      - .offset:         32
        .size:           8
        .value_kind:     by_value
      - .actual_access:  read_only
        .address_space:  global
        .offset:         40
        .size:           8
        .value_kind:     global_buffer
      - .actual_access:  read_only
        .address_space:  global
        .offset:         48
        .size:           8
        .value_kind:     global_buffer
      - .offset:         56
        .size:           4
        .value_kind:     by_value
      - .actual_access:  read_only
        .address_space:  global
        .offset:         64
        .size:           8
        .value_kind:     global_buffer
      - .actual_access:  read_only
        .address_space:  global
        .offset:         72
        .size:           8
        .value_kind:     global_buffer
      - .address_space:  global
        .offset:         80
        .size:           8
        .value_kind:     global_buffer
    .group_segment_fixed_size: 0
    .kernarg_segment_align: 8
    .kernarg_segment_size: 88
    .language:       OpenCL C
    .language_version:
      - 2
      - 0
    .max_flat_workgroup_size: 110
    .name:           fft_rtc_fwd_len660_factors_11_6_10_wgs_110_tpt_110_halfLds_dp_ip_CI_unitstride_sbrr_R2C_dirReg
    .private_segment_fixed_size: 0
    .sgpr_count:     38
    .sgpr_spill_count: 0
    .symbol:         fft_rtc_fwd_len660_factors_11_6_10_wgs_110_tpt_110_halfLds_dp_ip_CI_unitstride_sbrr_R2C_dirReg.kd
    .uniform_work_group_size: 1
    .uses_dynamic_stack: false
    .vgpr_count:     195
    .vgpr_spill_count: 0
    .wavefront_size: 32
    .workgroup_processor_mode: 1
amdhsa.target:   amdgcn-amd-amdhsa--gfx1030
amdhsa.version:
  - 1
  - 2
...

	.end_amdgpu_metadata
